;; amdgpu-corpus repo=ROCm/rocFFT kind=compiled arch=gfx1030 opt=O3
	.text
	.amdgcn_target "amdgcn-amd-amdhsa--gfx1030"
	.amdhsa_code_object_version 6
	.protected	fft_rtc_fwd_len900_factors_10_10_3_3_wgs_180_tpt_90_halfLds_half_ip_CI_unitstride_sbrr_R2C_dirReg ; -- Begin function fft_rtc_fwd_len900_factors_10_10_3_3_wgs_180_tpt_90_halfLds_half_ip_CI_unitstride_sbrr_R2C_dirReg
	.globl	fft_rtc_fwd_len900_factors_10_10_3_3_wgs_180_tpt_90_halfLds_half_ip_CI_unitstride_sbrr_R2C_dirReg
	.p2align	8
	.type	fft_rtc_fwd_len900_factors_10_10_3_3_wgs_180_tpt_90_halfLds_half_ip_CI_unitstride_sbrr_R2C_dirReg,@function
fft_rtc_fwd_len900_factors_10_10_3_3_wgs_180_tpt_90_halfLds_half_ip_CI_unitstride_sbrr_R2C_dirReg: ; @fft_rtc_fwd_len900_factors_10_10_3_3_wgs_180_tpt_90_halfLds_half_ip_CI_unitstride_sbrr_R2C_dirReg
; %bb.0:
	s_clause 0x2
	s_load_dwordx4 s[8:11], s[4:5], 0x0
	s_load_dwordx2 s[2:3], s[4:5], 0x50
	s_load_dwordx2 s[12:13], s[4:5], 0x18
	v_mul_u32_u24_e32 v1, 0x2d9, v0
	v_mov_b32_e32 v3, 0
	v_lshrrev_b32_e32 v7, 16, v1
	v_mov_b32_e32 v1, 0
	v_mov_b32_e32 v6, v3
	v_mov_b32_e32 v2, 0
	v_lshl_add_u32 v5, s6, 1, v7
	s_waitcnt lgkmcnt(0)
	v_cmp_lt_u64_e64 s0, s[10:11], 2
	s_and_b32 vcc_lo, exec_lo, s0
	s_cbranch_vccnz .LBB0_8
; %bb.1:
	s_load_dwordx2 s[0:1], s[4:5], 0x10
	v_mov_b32_e32 v1, 0
	s_add_u32 s6, s12, 8
	v_mov_b32_e32 v2, 0
	s_addc_u32 s7, s13, 0
	s_mov_b64 s[16:17], 1
	s_waitcnt lgkmcnt(0)
	s_add_u32 s14, s0, 8
	s_addc_u32 s15, s1, 0
.LBB0_2:                                ; =>This Inner Loop Header: Depth=1
	s_load_dwordx2 s[18:19], s[14:15], 0x0
                                        ; implicit-def: $vgpr8_vgpr9
	s_mov_b32 s0, exec_lo
	s_waitcnt lgkmcnt(0)
	v_or_b32_e32 v4, s19, v6
	v_cmpx_ne_u64_e32 0, v[3:4]
	s_xor_b32 s1, exec_lo, s0
	s_cbranch_execz .LBB0_4
; %bb.3:                                ;   in Loop: Header=BB0_2 Depth=1
	v_cvt_f32_u32_e32 v4, s18
	v_cvt_f32_u32_e32 v8, s19
	s_sub_u32 s0, 0, s18
	s_subb_u32 s20, 0, s19
	v_fmac_f32_e32 v4, 0x4f800000, v8
	v_rcp_f32_e32 v4, v4
	v_mul_f32_e32 v4, 0x5f7ffffc, v4
	v_mul_f32_e32 v8, 0x2f800000, v4
	v_trunc_f32_e32 v8, v8
	v_fmac_f32_e32 v4, 0xcf800000, v8
	v_cvt_u32_f32_e32 v8, v8
	v_cvt_u32_f32_e32 v4, v4
	v_mul_lo_u32 v9, s0, v8
	v_mul_hi_u32 v10, s0, v4
	v_mul_lo_u32 v11, s20, v4
	v_add_nc_u32_e32 v9, v10, v9
	v_mul_lo_u32 v10, s0, v4
	v_add_nc_u32_e32 v9, v9, v11
	v_mul_hi_u32 v11, v4, v10
	v_mul_lo_u32 v12, v4, v9
	v_mul_hi_u32 v13, v4, v9
	v_mul_hi_u32 v14, v8, v10
	v_mul_lo_u32 v10, v8, v10
	v_mul_hi_u32 v15, v8, v9
	v_mul_lo_u32 v9, v8, v9
	v_add_co_u32 v11, vcc_lo, v11, v12
	v_add_co_ci_u32_e32 v12, vcc_lo, 0, v13, vcc_lo
	v_add_co_u32 v10, vcc_lo, v11, v10
	v_add_co_ci_u32_e32 v10, vcc_lo, v12, v14, vcc_lo
	v_add_co_ci_u32_e32 v11, vcc_lo, 0, v15, vcc_lo
	v_add_co_u32 v9, vcc_lo, v10, v9
	v_add_co_ci_u32_e32 v10, vcc_lo, 0, v11, vcc_lo
	v_add_co_u32 v4, vcc_lo, v4, v9
	v_add_co_ci_u32_e32 v8, vcc_lo, v8, v10, vcc_lo
	v_mul_hi_u32 v9, s0, v4
	v_mul_lo_u32 v11, s20, v4
	v_mul_lo_u32 v10, s0, v8
	v_add_nc_u32_e32 v9, v9, v10
	v_mul_lo_u32 v10, s0, v4
	v_add_nc_u32_e32 v9, v9, v11
	v_mul_hi_u32 v11, v4, v10
	v_mul_lo_u32 v12, v4, v9
	v_mul_hi_u32 v13, v4, v9
	v_mul_hi_u32 v14, v8, v10
	v_mul_lo_u32 v10, v8, v10
	v_mul_hi_u32 v15, v8, v9
	v_mul_lo_u32 v9, v8, v9
	v_add_co_u32 v11, vcc_lo, v11, v12
	v_add_co_ci_u32_e32 v12, vcc_lo, 0, v13, vcc_lo
	v_add_co_u32 v10, vcc_lo, v11, v10
	v_add_co_ci_u32_e32 v10, vcc_lo, v12, v14, vcc_lo
	v_add_co_ci_u32_e32 v11, vcc_lo, 0, v15, vcc_lo
	v_add_co_u32 v9, vcc_lo, v10, v9
	v_add_co_ci_u32_e32 v10, vcc_lo, 0, v11, vcc_lo
	v_add_co_u32 v4, vcc_lo, v4, v9
	v_add_co_ci_u32_e32 v12, vcc_lo, v8, v10, vcc_lo
	v_mul_hi_u32 v14, v5, v4
	v_mad_u64_u32 v[10:11], null, v6, v4, 0
	v_mad_u64_u32 v[8:9], null, v5, v12, 0
	;; [unrolled: 1-line block ×3, first 2 shown]
	v_add_co_u32 v4, vcc_lo, v14, v8
	v_add_co_ci_u32_e32 v8, vcc_lo, 0, v9, vcc_lo
	v_add_co_u32 v4, vcc_lo, v4, v10
	v_add_co_ci_u32_e32 v4, vcc_lo, v8, v11, vcc_lo
	v_add_co_ci_u32_e32 v8, vcc_lo, 0, v13, vcc_lo
	v_add_co_u32 v4, vcc_lo, v4, v12
	v_add_co_ci_u32_e32 v10, vcc_lo, 0, v8, vcc_lo
	v_mul_lo_u32 v11, s19, v4
	v_mad_u64_u32 v[8:9], null, s18, v4, 0
	v_mul_lo_u32 v12, s18, v10
	v_sub_co_u32 v8, vcc_lo, v5, v8
	v_add3_u32 v9, v9, v12, v11
	v_sub_nc_u32_e32 v11, v6, v9
	v_subrev_co_ci_u32_e64 v11, s0, s19, v11, vcc_lo
	v_add_co_u32 v12, s0, v4, 2
	v_add_co_ci_u32_e64 v13, s0, 0, v10, s0
	v_sub_co_u32 v14, s0, v8, s18
	v_sub_co_ci_u32_e32 v9, vcc_lo, v6, v9, vcc_lo
	v_subrev_co_ci_u32_e64 v11, s0, 0, v11, s0
	v_cmp_le_u32_e32 vcc_lo, s18, v14
	v_cmp_eq_u32_e64 s0, s19, v9
	v_cndmask_b32_e64 v14, 0, -1, vcc_lo
	v_cmp_le_u32_e32 vcc_lo, s19, v11
	v_cndmask_b32_e64 v15, 0, -1, vcc_lo
	v_cmp_le_u32_e32 vcc_lo, s18, v8
	;; [unrolled: 2-line block ×3, first 2 shown]
	v_cndmask_b32_e64 v16, 0, -1, vcc_lo
	v_cmp_eq_u32_e32 vcc_lo, s19, v11
	v_cndmask_b32_e64 v8, v16, v8, s0
	v_cndmask_b32_e32 v11, v15, v14, vcc_lo
	v_add_co_u32 v14, vcc_lo, v4, 1
	v_add_co_ci_u32_e32 v15, vcc_lo, 0, v10, vcc_lo
	v_cmp_ne_u32_e32 vcc_lo, 0, v11
	v_cndmask_b32_e32 v9, v15, v13, vcc_lo
	v_cndmask_b32_e32 v11, v14, v12, vcc_lo
	v_cmp_ne_u32_e32 vcc_lo, 0, v8
	v_cndmask_b32_e32 v9, v10, v9, vcc_lo
	v_cndmask_b32_e32 v8, v4, v11, vcc_lo
.LBB0_4:                                ;   in Loop: Header=BB0_2 Depth=1
	s_andn2_saveexec_b32 s0, s1
	s_cbranch_execz .LBB0_6
; %bb.5:                                ;   in Loop: Header=BB0_2 Depth=1
	v_cvt_f32_u32_e32 v4, s18
	s_sub_i32 s1, 0, s18
	v_rcp_iflag_f32_e32 v4, v4
	v_mul_f32_e32 v4, 0x4f7ffffe, v4
	v_cvt_u32_f32_e32 v4, v4
	v_mul_lo_u32 v8, s1, v4
	v_mul_hi_u32 v8, v4, v8
	v_add_nc_u32_e32 v4, v4, v8
	v_mul_hi_u32 v4, v5, v4
	v_mul_lo_u32 v8, v4, s18
	v_add_nc_u32_e32 v9, 1, v4
	v_sub_nc_u32_e32 v8, v5, v8
	v_subrev_nc_u32_e32 v10, s18, v8
	v_cmp_le_u32_e32 vcc_lo, s18, v8
	v_cndmask_b32_e32 v8, v8, v10, vcc_lo
	v_cndmask_b32_e32 v4, v4, v9, vcc_lo
	v_cmp_le_u32_e32 vcc_lo, s18, v8
	v_add_nc_u32_e32 v9, 1, v4
	v_cndmask_b32_e32 v8, v4, v9, vcc_lo
	v_mov_b32_e32 v9, v3
.LBB0_6:                                ;   in Loop: Header=BB0_2 Depth=1
	s_or_b32 exec_lo, exec_lo, s0
	s_load_dwordx2 s[0:1], s[6:7], 0x0
	v_mul_lo_u32 v4, v9, s18
	v_mul_lo_u32 v12, v8, s19
	v_mad_u64_u32 v[10:11], null, v8, s18, 0
	s_add_u32 s16, s16, 1
	s_addc_u32 s17, s17, 0
	s_add_u32 s6, s6, 8
	s_addc_u32 s7, s7, 0
	;; [unrolled: 2-line block ×3, first 2 shown]
	v_add3_u32 v4, v11, v12, v4
	v_sub_co_u32 v5, vcc_lo, v5, v10
	v_sub_co_ci_u32_e32 v4, vcc_lo, v6, v4, vcc_lo
	s_waitcnt lgkmcnt(0)
	v_mul_lo_u32 v6, s1, v5
	v_mul_lo_u32 v4, s0, v4
	v_mad_u64_u32 v[1:2], null, s0, v5, v[1:2]
	v_cmp_ge_u64_e64 s0, s[16:17], s[10:11]
	s_and_b32 vcc_lo, exec_lo, s0
	v_add3_u32 v2, v6, v2, v4
	s_cbranch_vccnz .LBB0_9
; %bb.7:                                ;   in Loop: Header=BB0_2 Depth=1
	v_mov_b32_e32 v5, v8
	v_mov_b32_e32 v6, v9
	s_branch .LBB0_2
.LBB0_8:
	v_mov_b32_e32 v9, v6
	v_mov_b32_e32 v8, v5
.LBB0_9:
	s_lshl_b64 s[0:1], s[10:11], 3
	v_mul_hi_u32 v3, 0x2d82d83, v0
	s_add_u32 s0, s12, s0
	s_addc_u32 s1, s13, s1
	s_load_dwordx2 s[4:5], s[4:5], 0x20
	s_load_dwordx2 s[0:1], s[0:1], 0x0
	v_and_b32_e32 v4, 1, v7
	v_mul_u32_u24_e32 v3, 0x5a, v3
	v_sub_nc_u32_e32 v0, v0, v3
	v_add_nc_u32_e32 v7, 0xb4, v0
	v_add_nc_u32_e32 v6, 0x10e, v0
	s_waitcnt lgkmcnt(0)
	v_cmp_gt_u64_e32 vcc_lo, s[4:5], v[8:9]
	v_mul_lo_u32 v3, s0, v9
	v_mul_lo_u32 v5, s1, v8
	v_mad_u64_u32 v[1:2], null, s0, v8, v[1:2]
	v_cmp_le_u64_e64 s1, s[4:5], v[8:9]
	v_cmp_eq_u32_e64 s0, 1, v4
	v_add_nc_u32_e32 v4, 0x5a, v0
	v_add3_u32 v2, v5, v2, v3
	s_and_saveexec_b32 s4, s1
	s_xor_b32 s1, exec_lo, s4
; %bb.10:
	v_add_nc_u32_e32 v4, 0x5a, v0
	v_add_nc_u32_e32 v7, 0xb4, v0
	;; [unrolled: 1-line block ×3, first 2 shown]
; %bb.11:
	s_or_saveexec_b32 s1, s1
	v_cndmask_b32_e64 v5, 0, 0x385, s0
	v_lshlrev_b64 v[2:3], 2, v[1:2]
	v_lshlrev_b32_e32 v18, 2, v5
	v_lshlrev_b32_e32 v5, 2, v0
	s_xor_b32 exec_lo, exec_lo, s1
	s_cbranch_execz .LBB0_13
; %bb.12:
	v_mov_b32_e32 v1, 0
	v_lshlrev_b64 v[8:9], 2, v[0:1]
	v_add_co_u32 v1, s0, s2, v2
	v_add_co_ci_u32_e64 v10, s0, s3, v3, s0
	v_add_co_u32 v8, s0, v1, v8
	v_add_co_ci_u32_e64 v9, s0, v10, v9, s0
	;; [unrolled: 2-line block ×3, first 2 shown]
	s_clause 0x9
	global_load_dword v1, v[8:9], off
	global_load_dword v12, v[8:9], off offset:360
	global_load_dword v13, v[8:9], off offset:720
	;; [unrolled: 1-line block ×9, first 2 shown]
	v_add3_u32 v11, 0, v18, v5
	v_add_nc_u32_e32 v19, 0x200, v11
	v_add_nc_u32_e32 v20, 0x400, v11
	;; [unrolled: 1-line block ×4, first 2 shown]
	s_waitcnt vmcnt(8)
	ds_write2_b32 v11, v1, v12 offset1:90
	s_waitcnt vmcnt(6)
	ds_write2_b32 v19, v13, v14 offset0:52 offset1:142
	s_waitcnt vmcnt(4)
	ds_write2_b32 v20, v15, v8 offset0:104 offset1:194
	;; [unrolled: 2-line block ×4, first 2 shown]
.LBB0_13:
	s_or_b32 exec_lo, exec_lo, s1
	v_add3_u32 v17, 0, v5, v18
	v_add_nc_u32_e32 v1, 0, v18
	s_waitcnt lgkmcnt(0)
	s_barrier
	buffer_gl0_inv
	v_add_nc_u32_e32 v8, 0x400, v17
	v_add_nc_u32_e32 v9, 0x600, v17
	;; [unrolled: 1-line block ×4, first 2 shown]
	ds_read2_b32 v[11:12], v17 offset0:90 offset1:180
	ds_read2_b32 v[13:14], v8 offset0:14 offset1:104
	;; [unrolled: 1-line block ×4, first 2 shown]
	ds_read_b32 v24, v17 offset:3240
	v_and_b32_e32 v42, 0xff, v0
	v_mad_u32_u24 v23, v0, 36, v17
	ds_read_b32 v15, v16
	s_waitcnt lgkmcnt(0)
	s_barrier
	buffer_gl0_inv
	v_cmp_gt_u32_e64 s0, 30, v0
	v_sub_f16_e32 v29, v12, v14
	v_add_f16_e32 v25, v14, v20
	v_add_f16_e32 v30, v12, v22
	v_sub_f16_sdwa v27, v14, v20 dst_sel:DWORD dst_unused:UNUSED_PAD src0_sel:WORD_1 src1_sel:WORD_1
	v_sub_f16_sdwa v26, v12, v22 dst_sel:DWORD dst_unused:UNUSED_PAD src0_sel:WORD_1 src1_sel:WORD_1
	v_sub_f16_e32 v28, v22, v20
	v_pk_add_f16 v33, v15, v12
	v_lshrrev_b32_e32 v35, 16, v15
	v_fma_f16 v25, -0.5, v25, v15
	v_fma_f16 v15, -0.5, v30, v15
	v_sub_f16_e32 v31, v20, v22
	v_sub_f16_e32 v32, v14, v12
	v_add_f16_sdwa v34, v14, v20 dst_sel:DWORD dst_unused:UNUSED_PAD src0_sel:WORD_1 src1_sel:WORD_1
	v_pk_add_f16 v30, v33, v14
	v_fmamk_f16 v33, v27, 0xbb9c, v15
	v_fmac_f16_e32 v15, 0x3b9c, v27
	v_sub_f16_e32 v36, v12, v22
	v_add_f16_e32 v28, v29, v28
	v_add_f16_e32 v29, v32, v31
	v_fma_f16 v31, -0.5, v34, v35
	v_fmamk_f16 v32, v26, 0x3b9c, v25
	v_fmac_f16_e32 v25, 0xbb9c, v26
	v_fmac_f16_e32 v33, 0x38b4, v26
	;; [unrolled: 1-line block ×3, first 2 shown]
	v_sub_f16_e32 v37, v14, v20
	v_sub_f16_sdwa v38, v12, v14 dst_sel:DWORD dst_unused:UNUSED_PAD src0_sel:WORD_1 src1_sel:WORD_1
	v_sub_f16_sdwa v39, v22, v20 dst_sel:DWORD dst_unused:UNUSED_PAD src0_sel:WORD_1 src1_sel:WORD_1
	v_add_f16_sdwa v40, v12, v22 dst_sel:DWORD dst_unused:UNUSED_PAD src0_sel:WORD_1 src1_sel:WORD_1
	v_pk_add_f16 v30, v30, v20
	v_fmac_f16_e32 v32, 0x38b4, v27
	v_fmac_f16_e32 v25, 0xb8b4, v27
	v_fmamk_f16 v27, v36, 0xbb9c, v31
	v_fmac_f16_e32 v33, 0x34f2, v29
	v_fmac_f16_e32 v15, 0x34f2, v29
	;; [unrolled: 1-line block ×3, first 2 shown]
	v_add_f16_e32 v29, v19, v21
	v_fmac_f16_e32 v32, 0x34f2, v28
	v_fmac_f16_e32 v25, 0x34f2, v28
	;; [unrolled: 1-line block ×3, first 2 shown]
	v_add_f16_e32 v26, v38, v39
	v_fmac_f16_e32 v35, -0.5, v40
	v_pk_add_f16 v28, v30, v22
	v_fmac_f16_e32 v31, 0x38b4, v37
	v_sub_f16_sdwa v12, v14, v12 dst_sel:DWORD dst_unused:UNUSED_PAD src0_sel:WORD_1 src1_sel:WORD_1
	v_sub_f16_sdwa v14, v20, v22 dst_sel:DWORD dst_unused:UNUSED_PAD src0_sel:WORD_1 src1_sel:WORD_1
	v_fma_f16 v20, -0.5, v29, v11
	v_sub_f16_sdwa v22, v13, v24 dst_sel:DWORD dst_unused:UNUSED_PAD src0_sel:WORD_1 src1_sel:WORD_1
	v_fmac_f16_e32 v27, 0x34f2, v26
	v_fmamk_f16 v30, v37, 0x3b9c, v35
	v_fmac_f16_e32 v31, 0x34f2, v26
	v_add_f16_e32 v12, v12, v14
	v_fmac_f16_e32 v35, 0xbb9c, v37
	v_fmamk_f16 v14, v22, 0x3b9c, v20
	v_add_f16_e32 v26, v13, v24
	v_sub_f16_sdwa v29, v19, v21 dst_sel:DWORD dst_unused:UNUSED_PAD src0_sel:WORD_1 src1_sel:WORD_1
	v_sub_f16_e32 v34, v24, v21
	v_sub_f16_e32 v37, v13, v19
	v_fmac_f16_e32 v20, 0xbb9c, v22
	v_fmac_f16_e32 v30, 0xb8b4, v36
	v_fma_f16 v26, -0.5, v26, v11
	v_fmac_f16_e32 v35, 0x38b4, v36
	v_fmac_f16_e32 v14, 0x38b4, v29
	v_add_f16_e32 v34, v37, v34
	v_sub_f16_e32 v37, v21, v24
	v_sub_f16_e32 v38, v19, v13
	v_fmac_f16_e32 v20, 0xb8b4, v29
	v_fmac_f16_e32 v30, 0x34f2, v12
	v_fmamk_f16 v36, v29, 0xbb9c, v26
	v_fmac_f16_e32 v35, 0x34f2, v12
	v_fmac_f16_e32 v14, 0x34f2, v34
	v_add_f16_e32 v12, v38, v37
	v_fmac_f16_e32 v26, 0x3b9c, v29
	v_add_f16_sdwa v29, v19, v21 dst_sel:DWORD dst_unused:UNUSED_PAD src0_sel:WORD_1 src1_sel:WORD_1
	v_lshrrev_b32_e32 v37, 16, v11
	v_fmac_f16_e32 v20, 0x34f2, v34
	v_add_f16_sdwa v34, v13, v24 dst_sel:DWORD dst_unused:UNUSED_PAD src0_sel:WORD_1 src1_sel:WORD_1
	v_fmac_f16_e32 v36, 0x38b4, v22
	v_fmac_f16_e32 v26, 0xb8b4, v22
	v_fma_f16 v22, -0.5, v29, v37
	v_sub_f16_e32 v38, v19, v21
	v_fmac_f16_e32 v37, -0.5, v34
	v_sub_f16_e32 v29, v13, v24
	v_pk_add_f16 v11, v11, v13
	v_sub_f16_sdwa v34, v13, v19 dst_sel:DWORD dst_unused:UNUSED_PAD src0_sel:WORD_1 src1_sel:WORD_1
	v_sub_f16_sdwa v13, v19, v13 dst_sel:DWORD dst_unused:UNUSED_PAD src0_sel:WORD_1 src1_sel:WORD_1
	v_fmamk_f16 v39, v38, 0x3b9c, v37
	v_sub_f16_sdwa v40, v21, v24 dst_sel:DWORD dst_unused:UNUSED_PAD src0_sel:WORD_1 src1_sel:WORD_1
	v_fmac_f16_e32 v37, 0xbb9c, v38
	v_fmac_f16_e32 v36, 0x34f2, v12
	;; [unrolled: 1-line block ×3, first 2 shown]
	v_fmamk_f16 v12, v29, 0xbb9c, v22
	v_sub_f16_sdwa v41, v24, v21 dst_sel:DWORD dst_unused:UNUSED_PAD src0_sel:WORD_1 src1_sel:WORD_1
	v_add_f16_e32 v13, v13, v40
	v_fmac_f16_e32 v22, 0x3b9c, v29
	v_fmac_f16_e32 v37, 0x38b4, v29
	;; [unrolled: 1-line block ×3, first 2 shown]
	v_add_f16_e32 v34, v34, v41
	v_pk_add_f16 v11, v11, v19
	v_fmac_f16_e32 v22, 0x38b4, v38
	v_fmac_f16_e32 v37, 0x34f2, v13
	v_mul_f16_e32 v29, 0x34f2, v26
	v_fmac_f16_e32 v39, 0x34f2, v13
	v_pk_add_f16 v11, v11, v21
	v_fmac_f16_e32 v22, 0x34f2, v34
	v_fmac_f16_e32 v12, 0xb8b4, v38
	v_fma_f16 v21, v37, 0x3b9c, -v29
	v_mul_f16_e32 v29, 0x3a79, v20
	v_mul_f16_e32 v19, 0x3b9c, v39
	;; [unrolled: 1-line block ×3, first 2 shown]
	v_fmac_f16_e32 v12, 0x34f2, v34
	v_add_f16_e32 v38, v15, v21
	v_fma_f16 v29, v22, 0x38b4, -v29
	v_mul_f16_e32 v22, 0x3a79, v22
	v_sub_f16_e32 v15, v15, v21
	v_fmac_f16_e32 v19, 0x34f2, v36
	v_mul_f16_e32 v14, 0xb8b4, v14
	v_add_f16_e32 v40, v25, v29
	v_fma_f16 v20, v20, 0xb8b4, -v22
	v_sub_f16_e32 v21, v25, v29
	v_mul_lo_u16 v25, 0xcd, v42
	v_mul_f16_e32 v36, 0xbb9c, v36
	v_fmac_f16_e32 v13, 0x38b4, v12
	v_add_f16_e32 v41, v31, v20
	v_sub_f16_e32 v20, v31, v20
	v_lshrrev_b16 v31, 11, v25
	v_mul_f16_e32 v37, 0x34f2, v37
	v_fmac_f16_e32 v14, 0x3a79, v12
	v_fmac_f16_e32 v36, 0x34f2, v39
	v_pk_add_f16 v11, v11, v24
	v_mul_lo_u16 v25, v31, 10
	v_add_f16_e32 v24, v32, v13
	v_add_f16_e32 v34, v33, v19
	v_fma_f16 v12, v26, 0xbb9c, -v37
	v_add_f16_e32 v26, v27, v14
	v_sub_f16_e32 v13, v32, v13
	v_sub_f16_e32 v19, v33, v19
	;; [unrolled: 1-line block ×4, first 2 shown]
	v_sub_nc_u16 v33, v0, v25
	v_mov_b32_e32 v25, 9
	v_pk_add_f16 v22, v28, v11
	v_add_f16_e32 v37, v30, v36
	v_add_f16_e32 v39, v35, v12
	v_sub_f16_e32 v12, v35, v12
	v_pack_b32_f16 v24, v24, v26
	v_pack_b32_f16 v13, v13, v14
	;; [unrolled: 1-line block ×4, first 2 shown]
	v_mul_u32_u24_sdwa v20, v33, v25 dst_sel:DWORD dst_unused:UNUSED_PAD src0_sel:BYTE_0 src1_sel:DWORD
	ds_write2_b32 v23, v22, v24 offset1:1
	v_pack_b32_f16 v22, v38, v39
	v_pack_b32_f16 v24, v34, v37
	;; [unrolled: 1-line block ×3, first 2 shown]
	v_lshlrev_b32_e32 v15, 2, v20
	v_pk_add_f16 v11, v28, v11 neg_lo:[0,1] neg_hi:[0,1]
	v_pack_b32_f16 v26, v40, v41
	ds_write2_b32 v23, v24, v22 offset0:2 offset1:3
	ds_write2_b32 v23, v26, v11 offset0:4 offset1:5
	;; [unrolled: 1-line block ×4, first 2 shown]
	s_waitcnt lgkmcnt(0)
	s_barrier
	buffer_gl0_inv
	s_clause 0x2
	global_load_dwordx4 v[11:14], v15, s[8:9]
	global_load_dwordx4 v[25:28], v15, s[8:9] offset:16
	global_load_dword v15, v15, s[8:9] offset:32
	v_lshl_add_u32 v21, v4, 2, v1
	v_add_nc_u32_e32 v34, 0xa00, v17
	v_lshl_add_u32 v20, v7, 2, v1
	v_lshl_add_u32 v19, v6, 2, v1
	ds_read_b32 v35, v16
	ds_read2_b32 v[22:23], v10 offset0:28 offset1:118
	v_and_b32_e32 v10, 0xffff, v31
	ds_read2_b32 v[29:30], v34 offset0:80 offset1:170
	ds_read_b32 v36, v21
	ds_read_b32 v37, v20
	;; [unrolled: 1-line block ×3, first 2 shown]
	ds_read2_b32 v[31:32], v8 offset0:104 offset1:194
	v_mov_b32_e32 v24, 2
	s_waitcnt vmcnt(0) lgkmcnt(0)
	v_mad_u32_u24 v10, 0x190, v10, 0
	s_barrier
	buffer_gl0_inv
	v_lshlrev_b32_sdwa v33, v24, v33 dst_sel:DWORD dst_unused:UNUSED_PAD src0_sel:DWORD src1_sel:BYTE_0
	v_add3_u32 v10, v10, v33, v18
	v_lshrrev_b32_e32 v33, 16, v35
	v_lshrrev_b32_e32 v43, 16, v36
	;; [unrolled: 1-line block ×10, first 2 shown]
	v_mul_f16_sdwa v48, v11, v43 dst_sel:DWORD dst_unused:UNUSED_PAD src0_sel:WORD_1 src1_sel:DWORD
	v_mul_f16_sdwa v49, v11, v36 dst_sel:DWORD dst_unused:UNUSED_PAD src0_sel:WORD_1 src1_sel:DWORD
	;; [unrolled: 1-line block ×6, first 2 shown]
	v_fma_f16 v36, v11, v36, -v48
	v_fmac_f16_e32 v49, v11, v43
	v_mul_f16_sdwa v11, v22, v26 dst_sel:DWORD dst_unused:UNUSED_PAD src0_sel:DWORD src1_sel:WORD_1
	v_fma_f16 v38, v13, v38, -v52
	v_fmac_f16_e32 v53, v13, v45
	v_mul_f16_sdwa v13, v29, v28 dst_sel:DWORD dst_unused:UNUSED_PAD src0_sel:DWORD src1_sel:WORD_1
	v_mul_f16_sdwa v50, v12, v44 dst_sel:DWORD dst_unused:UNUSED_PAD src0_sel:WORD_1 src1_sel:DWORD
	v_mul_f16_sdwa v54, v14, v46 dst_sel:DWORD dst_unused:UNUSED_PAD src0_sel:WORD_1 src1_sel:DWORD
	;; [unrolled: 1-line block ×4, first 2 shown]
	v_mul_f16_sdwa v48, v39, v26 dst_sel:DWORD dst_unused:UNUSED_PAD src0_sel:DWORD src1_sel:WORD_1
	v_mul_f16_sdwa v43, v40, v27 dst_sel:DWORD dst_unused:UNUSED_PAD src0_sel:DWORD src1_sel:WORD_1
	v_fmac_f16_e32 v51, v12, v44
	v_mul_f16_sdwa v44, v41, v28 dst_sel:DWORD dst_unused:UNUSED_PAD src0_sel:DWORD src1_sel:WORD_1
	v_fmac_f16_e32 v55, v14, v46
	;; [unrolled: 2-line block ×3, first 2 shown]
	v_fmac_f16_e32 v13, v41, v28
	v_fma_f16 v37, v12, v37, -v50
	v_mul_f16_sdwa v12, v23, v27 dst_sel:DWORD dst_unused:UNUSED_PAD src0_sel:DWORD src1_sel:WORD_1
	v_fma_f16 v14, v14, v31, -v54
	v_mul_f16_sdwa v31, v30, v15 dst_sel:DWORD dst_unused:UNUSED_PAD src0_sel:DWORD src1_sel:WORD_1
	v_fma_f16 v32, v25, v32, -v56
	v_fmac_f16_e32 v57, v25, v47
	v_fma_f16 v22, v22, v26, -v48
	v_fma_f16 v23, v23, v27, -v43
	v_fma_f16 v25, v29, v28, -v44
	v_fma_f16 v26, v30, v15, -v45
	v_add_f16_e32 v43, v33, v51
	v_sub_f16_e32 v46, v51, v55
	v_sub_f16_e32 v47, v13, v11
	v_fmac_f16_e32 v12, v40, v27
	v_sub_f16_e32 v28, v51, v13
	v_add_f16_e32 v44, v55, v11
	v_add_f16_e32 v48, v51, v13
	v_sub_f16_e32 v50, v55, v51
	v_sub_f16_e32 v51, v11, v13
	v_fmac_f16_e32 v31, v42, v15
	v_add_f16_e32 v15, v35, v37
	v_add_f16_e32 v27, v14, v22
	v_sub_f16_e32 v29, v55, v11
	v_sub_f16_e32 v30, v37, v14
	;; [unrolled: 1-line block ×3, first 2 shown]
	v_add_f16_e32 v40, v37, v25
	v_sub_f16_e32 v41, v14, v37
	v_sub_f16_e32 v42, v22, v25
	v_add_f16_e32 v43, v43, v55
	v_sub_f16_e32 v55, v32, v38
	v_add_f16_e32 v46, v46, v47
	;; [unrolled: 2-line block ×3, first 2 shown]
	v_add_f16_e32 v54, v32, v23
	v_fma_f16 v44, -0.5, v44, v33
	v_fmac_f16_e32 v33, -0.5, v48
	v_add_f16_e32 v48, v49, v53
	v_add_f16_e32 v50, v50, v51
	;; [unrolled: 1-line block ×3, first 2 shown]
	v_sub_f16_e32 v45, v14, v22
	v_add_f16_e32 v14, v15, v14
	v_add_f16_e32 v30, v30, v39
	v_sub_f16_e32 v39, v38, v32
	v_fma_f16 v27, -0.5, v27, v35
	v_fmac_f16_e32 v35, -0.5, v40
	v_sub_f16_e32 v40, v26, v23
	v_add_f16_e32 v41, v41, v42
	v_add_f16_e32 v42, v38, v26
	;; [unrolled: 1-line block ×4, first 2 shown]
	v_sub_f16_e32 v56, v53, v31
	v_sub_f16_e32 v38, v38, v26
	v_fma_f16 v54, -0.5, v54, v36
	v_add_f16_e32 v48, v48, v57
	v_add_f16_e32 v52, v52, v32
	v_fma_f16 v51, -0.5, v51, v49
	v_sub_f16_e32 v15, v57, v12
	v_add_f16_e32 v39, v39, v40
	v_sub_f16_e32 v40, v53, v57
	v_fmac_f16_e32 v36, -0.5, v42
	v_sub_f16_e32 v42, v31, v12
	v_sub_f16_e32 v53, v57, v53
	;; [unrolled: 1-line block ×4, first 2 shown]
	v_fmac_f16_e32 v49, -0.5, v55
	v_add_f16_e32 v14, v14, v22
	v_add_f16_e32 v23, v52, v23
	v_fmamk_f16 v52, v56, 0x3b9c, v54
	v_add_f16_e32 v12, v48, v12
	v_fmamk_f16 v48, v38, 0xbb9c, v51
	v_sub_f16_e32 v37, v37, v25
	v_add_f16_e32 v40, v40, v42
	v_add_f16_e32 v42, v53, v57
	v_fmamk_f16 v57, v15, 0xbb9c, v36
	v_fmac_f16_e32 v36, 0x3b9c, v15
	v_add_f16_e32 v14, v14, v25
	v_fmamk_f16 v25, v32, 0x3b9c, v49
	v_fmac_f16_e32 v49, 0xbb9c, v32
	v_fmac_f16_e32 v54, 0xbb9c, v56
	;; [unrolled: 1-line block ×3, first 2 shown]
	v_add_f16_e32 v11, v43, v11
	v_fmac_f16_e32 v52, 0x38b4, v15
	v_fmac_f16_e32 v48, 0xb8b4, v32
	v_fmamk_f16 v22, v28, 0x3b9c, v27
	v_fmac_f16_e32 v27, 0xbb9c, v28
	v_fmac_f16_e32 v57, 0x38b4, v56
	;; [unrolled: 1-line block ×7, first 2 shown]
	v_fmamk_f16 v43, v37, 0xbb9c, v44
	v_add_f16_e32 v11, v11, v13
	v_add_f16_e32 v12, v12, v31
	v_fmac_f16_e32 v52, 0x34f2, v39
	v_fmac_f16_e32 v48, 0x34f2, v40
	v_fmamk_f16 v53, v29, 0xbb9c, v35
	v_fmac_f16_e32 v35, 0x3b9c, v29
	v_fmamk_f16 v55, v45, 0x3b9c, v33
	v_fmac_f16_e32 v33, 0xbb9c, v45
	v_fmac_f16_e32 v22, 0x38b4, v29
	;; [unrolled: 1-line block ×3, first 2 shown]
	v_add_f16_e32 v13, v23, v26
	v_fmac_f16_e32 v57, 0x34f2, v47
	v_fmac_f16_e32 v36, 0x34f2, v47
	;; [unrolled: 1-line block ×8, first 2 shown]
	v_add_f16_e32 v23, v11, v12
	v_sub_f16_e32 v11, v11, v12
	v_mul_f16_e32 v12, 0x38b4, v48
	v_mul_f16_e32 v29, 0xb8b4, v52
	v_fmac_f16_e32 v53, 0x38b4, v28
	v_fmac_f16_e32 v35, 0xb8b4, v28
	;; [unrolled: 1-line block ×6, first 2 shown]
	v_add_f16_e32 v15, v14, v13
	v_sub_f16_e32 v13, v14, v13
	v_mul_f16_e32 v14, 0x3b9c, v25
	v_mul_f16_e32 v26, 0x34f2, v36
	;; [unrolled: 1-line block ×4, first 2 shown]
	v_fmac_f16_e32 v44, 0x38b4, v45
	v_mul_f16_e32 v28, 0x3a79, v54
	v_mul_f16_e32 v32, 0x3a79, v51
	v_fmac_f16_e32 v43, 0x34f2, v46
	v_fmac_f16_e32 v12, 0x3a79, v52
	;; [unrolled: 1-line block ×7, first 2 shown]
	v_pack_b32_f16 v11, v13, v11
	v_fmac_f16_e32 v14, 0x34f2, v57
	v_fma_f16 v13, v49, 0x3b9c, -v26
	v_fmac_f16_e32 v30, 0x34f2, v25
	v_fma_f16 v25, v36, 0xbb9c, -v31
	v_fmac_f16_e32 v44, 0x34f2, v46
	v_pack_b32_f16 v15, v15, v23
	v_fma_f16 v23, v51, 0x38b4, -v28
	v_fma_f16 v26, v54, 0xb8b4, -v32
	v_add_f16_e32 v28, v22, v12
	v_add_f16_e32 v37, v43, v29
	v_add_f16_e32 v31, v53, v14
	v_add_f16_e32 v32, v35, v13
	v_add_f16_e32 v38, v55, v30
	v_add_f16_e32 v39, v33, v25
	v_add_f16_e32 v36, v27, v23
	v_add_f16_e32 v40, v44, v26
	v_sub_f16_e32 v12, v22, v12
	v_sub_f16_e32 v14, v53, v14
	;; [unrolled: 1-line block ×8, first 2 shown]
	v_pack_b32_f16 v26, v28, v37
	v_pack_b32_f16 v28, v31, v38
	;; [unrolled: 1-line block ×8, first 2 shown]
	ds_write2_b32 v10, v15, v26 offset1:10
	ds_write2_b32 v10, v28, v30 offset0:20 offset1:30
	ds_write2_b32 v10, v31, v11 offset0:40 offset1:50
	ds_write2_b32 v10, v12, v14 offset0:60 offset1:70
	ds_write2_b32 v10, v13, v25 offset0:80 offset1:90
	s_waitcnt lgkmcnt(0)
	s_barrier
	buffer_gl0_inv
	ds_read2_b32 v[14:15], v8 offset0:44 offset1:134
	ds_read2_b32 v[10:11], v9 offset0:96 offset1:216
	ds_read2_b32 v[12:13], v34 offset0:50 offset1:140
	ds_read_b32 v25, v16
	ds_read_b32 v26, v21
	;; [unrolled: 1-line block ×3, first 2 shown]
                                        ; implicit-def: $vgpr29
                                        ; implicit-def: $vgpr28
                                        ; implicit-def: $vgpr31
                                        ; implicit-def: $vgpr30
	s_and_saveexec_b32 s1, s0
	s_cbranch_execz .LBB0_15
; %bb.14:
	ds_read_b32 v22, v19
	ds_read_b32 v28, v17 offset:3480
	ds_read_b32 v30, v17 offset:2280
	s_waitcnt lgkmcnt(2)
	v_lshrrev_b32_e32 v23, 16, v22
	s_waitcnt lgkmcnt(1)
	v_lshrrev_b32_e32 v29, 16, v28
	;; [unrolled: 2-line block ×3, first 2 shown]
.LBB0_15:
	s_or_b32 exec_lo, exec_lo, s1
	v_add_nc_u32_e32 v8, -10, v0
	v_cmp_gt_u32_e64 s1, 10, v0
	v_lshlrev_b32_e32 v32, 1, v0
	v_mov_b32_e32 v33, 0
	v_lshrrev_b16 v34, 2, v7
	v_mov_b32_e32 v35, 0x147b
	v_cndmask_b32_e64 v42, v8, v4, s1
	v_lshrrev_b16 v36, 2, v6
	v_lshlrev_b64 v[8:9], 2, v[32:33]
	v_mov_b32_e32 v38, 3
	v_mul_u32_u24_sdwa v34, v34, v35 dst_sel:DWORD dst_unused:UNUSED_PAD src0_sel:WORD_0 src1_sel:DWORD
	v_lshlrev_b32_e32 v32, 1, v42
	v_mul_u32_u24_sdwa v36, v36, v35 dst_sel:DWORD dst_unused:UNUSED_PAD src0_sel:WORD_0 src1_sel:DWORD
	s_waitcnt lgkmcnt(5)
	v_lshrrev_b32_e32 v48, 16, v14
	v_add_co_u32 v8, s1, s8, v8
	v_lshlrev_b64 v[32:33], 2, v[32:33]
	v_lshrrev_b32_e32 v43, 17, v34
	v_lshrrev_b32_e32 v36, 17, v36
	v_add_co_ci_u32_e64 v9, s1, s9, v9, s1
	s_waitcnt lgkmcnt(4)
	v_lshrrev_b32_e32 v49, 16, v11
	v_add_co_u32 v32, s1, s8, v32
	v_mul_lo_u16 v37, 0x64, v43
	v_add_co_ci_u32_e64 v33, s1, s9, v33, s1
	v_mul_lo_u16 v39, 0x64, v36
	global_load_dwordx2 v[34:35], v[8:9], off offset:360
	v_sub_nc_u16 v44, v7, v37
	global_load_dwordx2 v[36:37], v[32:33], off offset:360
	v_cmp_lt_u32_e64 s1, 9, v0
	v_sub_nc_u16 v32, v6, v39
	v_lshlrev_b32_e32 v42, 2, v42
	v_lshlrev_b32_sdwa v33, v38, v44 dst_sel:DWORD dst_unused:UNUSED_PAD src0_sel:DWORD src1_sel:WORD_0
	v_lshlrev_b32_sdwa v24, v24, v44 dst_sel:DWORD dst_unused:UNUSED_PAD src0_sel:DWORD src1_sel:WORD_0
	v_cndmask_b32_e64 v45, 0, 0x4b0, s1
	v_lshlrev_b32_sdwa v40, v38, v32 dst_sel:DWORD dst_unused:UNUSED_PAD src0_sel:DWORD src1_sel:WORD_0
	s_clause 0x1
	global_load_dwordx2 v[38:39], v33, s[8:9] offset:360
	global_load_dwordx2 v[40:41], v40, s[8:9] offset:360
	v_add_nc_u32_e32 v45, 0, v45
	v_lshrrev_b32_e32 v50, 16, v15
	s_waitcnt lgkmcnt(3)
	v_lshrrev_b32_e32 v51, 16, v12
	v_mad_u32_u24 v43, 0x4b0, v43, 0
	s_waitcnt lgkmcnt(2)
	v_lshrrev_b32_e32 v33, 16, v25
	v_add3_u32 v42, v45, v42, v18
	v_lshrrev_b32_e32 v52, 16, v10
	v_lshrrev_b32_e32 v53, 16, v13
	v_add3_u32 v43, v43, v24, v18
	s_waitcnt lgkmcnt(1)
	v_lshrrev_b32_e32 v46, 16, v26
	s_waitcnt lgkmcnt(0)
	v_lshrrev_b32_e32 v47, 16, v27
	s_waitcnt vmcnt(0)
	s_barrier
	buffer_gl0_inv
	v_mul_f16_sdwa v44, v34, v48 dst_sel:DWORD dst_unused:UNUSED_PAD src0_sel:WORD_1 src1_sel:DWORD
	v_mul_f16_sdwa v45, v34, v14 dst_sel:DWORD dst_unused:UNUSED_PAD src0_sel:WORD_1 src1_sel:DWORD
	;; [unrolled: 1-line block ×5, first 2 shown]
	v_fma_f16 v14, v34, v14, -v44
	v_fmac_f16_e32 v45, v34, v48
	v_fma_f16 v11, v35, v11, -v54
	v_fmac_f16_e32 v55, v35, v49
	v_mul_f16_sdwa v34, v36, v15 dst_sel:DWORD dst_unused:UNUSED_PAD src0_sel:WORD_1 src1_sel:DWORD
	v_mul_f16_sdwa v35, v37, v51 dst_sel:DWORD dst_unused:UNUSED_PAD src0_sel:WORD_1 src1_sel:DWORD
	;; [unrolled: 1-line block ×3, first 2 shown]
	v_add_f16_e32 v49, v14, v11
	v_sub_f16_e32 v54, v45, v55
	v_add_f16_e32 v56, v33, v45
	v_add_f16_e32 v45, v45, v55
	v_mul_f16_sdwa v57, v38, v52 dst_sel:DWORD dst_unused:UNUSED_PAD src0_sel:WORD_1 src1_sel:DWORD
	v_mul_f16_sdwa v58, v38, v10 dst_sel:DWORD dst_unused:UNUSED_PAD src0_sel:WORD_1 src1_sel:DWORD
	;; [unrolled: 1-line block ×4, first 2 shown]
	v_add_f16_e32 v48, v25, v14
	v_mul_f16_sdwa v61, v31, v40 dst_sel:DWORD dst_unused:UNUSED_PAD src0_sel:DWORD src1_sel:WORD_1
	v_fma_f16 v15, v36, v15, -v24
	v_mul_f16_sdwa v24, v30, v40 dst_sel:DWORD dst_unused:UNUSED_PAD src0_sel:DWORD src1_sel:WORD_1
	v_mul_f16_sdwa v62, v29, v41 dst_sel:DWORD dst_unused:UNUSED_PAD src0_sel:DWORD src1_sel:WORD_1
	v_fmac_f16_e32 v34, v36, v50
	v_mul_f16_sdwa v36, v28, v41 dst_sel:DWORD dst_unused:UNUSED_PAD src0_sel:DWORD src1_sel:WORD_1
	v_fma_f16 v12, v37, v12, -v35
	v_fmac_f16_e32 v44, v37, v51
	v_sub_f16_e32 v14, v14, v11
	v_fmac_f16_e32 v25, -0.5, v49
	v_fmac_f16_e32 v33, -0.5, v45
	v_fma_f16 v10, v38, v10, -v57
	v_fmac_f16_e32 v58, v38, v52
	v_fma_f16 v13, v39, v13, -v59
	v_fmac_f16_e32 v60, v39, v53
	v_add_f16_e32 v11, v48, v11
	v_add_f16_e32 v35, v56, v55
	v_fma_f16 v30, v30, v40, -v61
	v_fmac_f16_e32 v24, v31, v40
	v_fma_f16 v28, v28, v41, -v62
	v_fmac_f16_e32 v36, v29, v41
	v_add_f16_e32 v37, v15, v12
	v_sub_f16_e32 v38, v34, v44
	v_add_f16_e32 v39, v46, v34
	v_add_f16_e32 v34, v34, v44
	v_fmamk_f16 v29, v54, 0x3aee, v25
	v_fmamk_f16 v31, v14, 0xbaee, v33
	v_fmac_f16_e32 v33, 0x3aee, v14
	v_add_f16_e32 v14, v26, v15
	v_add_f16_e32 v40, v10, v13
	;; [unrolled: 1-line block ×3, first 2 shown]
	v_fmac_f16_e32 v25, 0xbaee, v54
	v_sub_f16_e32 v15, v15, v12
	v_pack_b32_f16 v11, v11, v35
	v_add_f16_e32 v35, v27, v10
	v_add_f16_e32 v45, v47, v58
	;; [unrolled: 1-line block ×4, first 2 shown]
	v_fmac_f16_e32 v26, -0.5, v37
	v_fmac_f16_e32 v46, -0.5, v34
	v_sub_f16_e32 v41, v58, v60
	v_sub_f16_e32 v10, v10, v13
	v_add_f16_e32 v12, v14, v12
	v_add_f16_e32 v14, v39, v44
	v_pack_b32_f16 v29, v29, v31
	v_fmac_f16_e32 v27, -0.5, v40
	v_fmac_f16_e32 v47, -0.5, v48
	v_pack_b32_f16 v31, v25, v33
	v_add_f16_e32 v49, v22, v30
	v_sub_f16_e32 v51, v24, v36
	v_add_f16_e32 v52, v23, v24
	v_sub_f16_e32 v30, v30, v28
	v_add_f16_e32 v13, v35, v13
	v_add_f16_e32 v33, v45, v60
	v_fmac_f16_e32 v22, -0.5, v50
	v_fmac_f16_e32 v23, -0.5, v53
	v_fmamk_f16 v34, v38, 0x3aee, v26
	v_fmamk_f16 v35, v15, 0xbaee, v46
	v_fmac_f16_e32 v26, 0xbaee, v38
	v_fmac_f16_e32 v46, 0x3aee, v15
	ds_write2_b32 v17, v11, v29 offset1:100
	ds_write_b32 v17, v31 offset:800
	v_pack_b32_f16 v11, v12, v14
	v_fmamk_f16 v12, v41, 0x3aee, v27
	v_fmamk_f16 v14, v10, 0xbaee, v47
	v_fmac_f16_e32 v27, 0xbaee, v41
	v_fmac_f16_e32 v47, 0x3aee, v10
	v_add_f16_e32 v24, v49, v28
	v_add_f16_e32 v25, v52, v36
	v_fmamk_f16 v28, v51, 0x3aee, v22
	v_fmac_f16_e32 v22, 0xbaee, v51
	v_fmamk_f16 v29, v30, 0xbaee, v23
	v_pack_b32_f16 v10, v13, v33
	v_pack_b32_f16 v13, v34, v35
	v_fmac_f16_e32 v23, 0x3aee, v30
	v_pack_b32_f16 v15, v26, v46
	v_pack_b32_f16 v12, v12, v14
	;; [unrolled: 1-line block ×3, first 2 shown]
	ds_write2_b32 v42, v11, v13 offset1:100
	ds_write_b32 v42, v15 offset:800
	ds_write2_b32 v43, v10, v12 offset1:100
	ds_write_b32 v43, v14 offset:800
	s_and_saveexec_b32 s1, s0
	s_cbranch_execz .LBB0_17
; %bb.16:
	v_mov_b32_e32 v10, 2
	v_perm_b32 v11, v25, v24, 0x5040100
	v_perm_b32 v12, v29, v28, 0x5040100
	;; [unrolled: 1-line block ×3, first 2 shown]
	v_lshlrev_b32_sdwa v10, v10, v32 dst_sel:DWORD dst_unused:UNUSED_PAD src0_sel:DWORD src1_sel:WORD_0
	v_add3_u32 v10, 0, v10, v18
	v_add_nc_u32_e32 v13, 0x800, v10
	ds_write2_b32 v13, v11, v12 offset0:88 offset1:188
	ds_write_b32 v10, v14 offset:3200
.LBB0_17:
	s_or_b32 exec_lo, exec_lo, s1
	v_add_nc_u32_e32 v10, 0x400, v17
	v_add_nc_u32_e32 v11, 0x600, v17
	;; [unrolled: 1-line block ×3, first 2 shown]
	s_waitcnt lgkmcnt(0)
	s_barrier
	buffer_gl0_inv
	ds_read2_b32 v[14:15], v10 offset0:44 offset1:134
	ds_read2_b32 v[12:13], v11 offset0:96 offset1:216
	;; [unrolled: 1-line block ×3, first 2 shown]
	ds_read_b32 v27, v16
	ds_read_b32 v26, v21
	;; [unrolled: 1-line block ×3, first 2 shown]
	s_and_saveexec_b32 s1, s0
	s_cbranch_execz .LBB0_19
; %bb.18:
	ds_read_b32 v24, v19
	ds_read_b32 v22, v17 offset:3480
	ds_read_b32 v28, v17 offset:2280
	s_waitcnt lgkmcnt(2)
	v_lshrrev_b32_e32 v25, 16, v24
	s_waitcnt lgkmcnt(1)
	v_lshrrev_b32_e32 v23, 16, v22
	;; [unrolled: 2-line block ×3, first 2 shown]
.LBB0_19:
	s_or_b32 exec_lo, exec_lo, s1
	global_load_dwordx2 v[30:31], v[8:9], off offset:1160
	v_lshlrev_b32_e32 v8, 1, v4
	v_mov_b32_e32 v9, 0
	s_waitcnt lgkmcnt(5)
	v_lshrrev_b32_e32 v39, 16, v14
	s_waitcnt lgkmcnt(4)
	v_lshrrev_b32_e32 v41, 16, v13
	;; [unrolled: 2-line block ×3, first 2 shown]
	v_lshrrev_b32_e32 v43, 16, v15
	v_lshlrev_b64 v[32:33], 2, v[8:9]
	v_lshlrev_b32_e32 v8, 1, v7
	v_lshrrev_b32_e32 v38, 16, v11
	v_lshrrev_b32_e32 v40, 16, v12
	s_waitcnt lgkmcnt(1)
	v_lshrrev_b32_e32 v36, 16, v26
	s_waitcnt lgkmcnt(0)
	v_lshrrev_b32_e32 v37, 16, v18
	v_lshlrev_b64 v[34:35], 2, v[8:9]
	v_add_co_u32 v32, s1, s8, v32
	v_add_co_ci_u32_e64 v33, s1, s9, v33, s1
	v_lshrrev_b32_e32 v8, 16, v27
	v_add_co_u32 v34, s1, s8, v34
	global_load_dwordx2 v[32:33], v[32:33], off offset:1160
	v_add_co_ci_u32_e64 v35, s1, s9, v35, s1
	global_load_dwordx2 v[34:35], v[34:35], off offset:1160
	s_waitcnt vmcnt(0)
	s_barrier
	buffer_gl0_inv
	v_mul_f16_sdwa v44, v30, v39 dst_sel:DWORD dst_unused:UNUSED_PAD src0_sel:WORD_1 src1_sel:DWORD
	v_mul_f16_sdwa v45, v30, v14 dst_sel:DWORD dst_unused:UNUSED_PAD src0_sel:WORD_1 src1_sel:DWORD
	;; [unrolled: 1-line block ×4, first 2 shown]
	v_fma_f16 v14, v30, v14, -v44
	v_fmac_f16_e32 v45, v30, v39
	v_fma_f16 v13, v31, v13, -v46
	v_fmac_f16_e32 v47, v31, v41
	v_add_f16_e32 v30, v27, v14
	v_add_f16_e32 v41, v8, v45
	;; [unrolled: 1-line block ×4, first 2 shown]
	v_sub_f16_e32 v39, v45, v47
	v_sub_f16_e32 v14, v14, v13
	v_add_f16_e32 v13, v30, v13
	v_fmac_f16_e32 v27, -0.5, v31
	v_add_f16_e32 v30, v41, v47
	v_fmac_f16_e32 v8, -0.5, v44
	v_mul_f16_sdwa v31, v32, v43 dst_sel:DWORD dst_unused:UNUSED_PAD src0_sel:WORD_1 src1_sel:DWORD
	v_mul_f16_sdwa v41, v32, v15 dst_sel:DWORD dst_unused:UNUSED_PAD src0_sel:WORD_1 src1_sel:DWORD
	;; [unrolled: 1-line block ×4, first 2 shown]
	v_fmamk_f16 v46, v39, 0x3aee, v27
	v_fmac_f16_e32 v27, 0xbaee, v39
	v_fmamk_f16 v39, v14, 0xbaee, v8
	v_fmac_f16_e32 v8, 0x3aee, v14
	v_pack_b32_f16 v13, v13, v30
	v_fma_f16 v14, v32, v15, -v31
	v_fmac_f16_e32 v41, v32, v43
	v_fma_f16 v10, v33, v10, -v44
	v_mul_f16_sdwa v15, v34, v40 dst_sel:DWORD dst_unused:UNUSED_PAD src0_sel:WORD_1 src1_sel:DWORD
	v_mul_f16_sdwa v30, v34, v12 dst_sel:DWORD dst_unused:UNUSED_PAD src0_sel:WORD_1 src1_sel:DWORD
	;; [unrolled: 1-line block ×4, first 2 shown]
	v_fmac_f16_e32 v45, v33, v42
	ds_write_b32 v17, v13
	v_pack_b32_f16 v13, v46, v39
	v_pack_b32_f16 v8, v27, v8
	v_fma_f16 v12, v34, v12, -v15
	v_fmac_f16_e32 v30, v34, v40
	v_fma_f16 v11, v35, v11, -v31
	v_fmac_f16_e32 v32, v35, v38
	v_add_f16_e32 v15, v26, v14
	v_add_f16_e32 v27, v14, v10
	;; [unrolled: 1-line block ×4, first 2 shown]
	v_sub_f16_e32 v14, v14, v10
	ds_write_b32 v17, v13 offset:1200
	ds_write_b32 v17, v8 offset:2400
	v_add_f16_e32 v8, v15, v10
	v_fmac_f16_e32 v26, -0.5, v27
	v_add_f16_e32 v10, v33, v45
	v_add_f16_e32 v15, v12, v11
	v_sub_f16_e32 v27, v30, v32
	v_add_f16_e32 v33, v37, v30
	v_add_f16_e32 v30, v30, v32
	v_sub_f16_e32 v31, v41, v45
	v_fmac_f16_e32 v36, -0.5, v34
	v_add_f16_e32 v13, v18, v12
	v_sub_f16_e32 v12, v12, v11
	v_fmac_f16_e32 v18, -0.5, v15
	v_fmac_f16_e32 v37, -0.5, v30
	v_fmamk_f16 v34, v31, 0x3aee, v26
	v_fmac_f16_e32 v26, 0xbaee, v31
	v_fmamk_f16 v31, v14, 0xbaee, v36
	v_pack_b32_f16 v8, v8, v10
	v_fmac_f16_e32 v36, 0x3aee, v14
	v_add_f16_e32 v11, v13, v11
	v_add_f16_e32 v13, v33, v32
	v_fmamk_f16 v10, v27, 0x3aee, v18
	v_fmamk_f16 v14, v12, 0xbaee, v37
	v_fmac_f16_e32 v18, 0xbaee, v27
	v_fmac_f16_e32 v37, 0x3aee, v12
	ds_write_b32 v21, v8
	v_pack_b32_f16 v8, v34, v31
	v_pack_b32_f16 v12, v26, v36
	;; [unrolled: 1-line block ×5, first 2 shown]
	ds_write_b32 v21, v8 offset:1200
	ds_write_b32 v21, v12 offset:2400
	ds_write_b32 v20, v11
	ds_write_b32 v20, v10 offset:1200
	ds_write_b32 v20, v13 offset:2400
	s_and_saveexec_b32 s1, s0
	s_cbranch_execz .LBB0_21
; %bb.20:
	v_subrev_nc_u32_e32 v8, 30, v0
	v_cndmask_b32_e64 v8, v8, v6, s0
	v_lshlrev_b32_e32 v8, 1, v8
	v_lshlrev_b64 v[8:9], 2, v[8:9]
	v_add_co_u32 v8, s0, s8, v8
	v_add_co_ci_u32_e64 v9, s0, s9, v9, s0
	global_load_dwordx2 v[8:9], v[8:9], off offset:1160
	s_waitcnt vmcnt(0)
	v_mul_f16_sdwa v10, v29, v8 dst_sel:DWORD dst_unused:UNUSED_PAD src0_sel:DWORD src1_sel:WORD_1
	v_mul_f16_sdwa v11, v28, v8 dst_sel:DWORD dst_unused:UNUSED_PAD src0_sel:DWORD src1_sel:WORD_1
	;; [unrolled: 1-line block ×4, first 2 shown]
	v_fma_f16 v10, v28, v8, -v10
	v_fmac_f16_e32 v11, v29, v8
	v_fmac_f16_e32 v12, v23, v9
	v_fma_f16 v8, v22, v9, -v13
	v_add_f16_e32 v15, v25, v11
	v_add_f16_e32 v9, v11, v12
	;; [unrolled: 1-line block ×3, first 2 shown]
	v_sub_f16_e32 v13, v10, v8
	v_add_f16_e32 v10, v24, v10
	v_sub_f16_e32 v11, v11, v12
	v_fma_f16 v9, -0.5, v9, v25
	v_fma_f16 v14, -0.5, v14, v24
	v_add_f16_e32 v12, v15, v12
	v_add_f16_e32 v8, v10, v8
	v_fmamk_f16 v10, v13, 0x3aee, v9
	v_fmac_f16_e32 v9, 0xbaee, v13
	v_fmamk_f16 v13, v11, 0xbaee, v14
	v_fmac_f16_e32 v14, 0x3aee, v11
	v_pack_b32_f16 v8, v8, v12
	v_pack_b32_f16 v10, v13, v10
	;; [unrolled: 1-line block ×3, first 2 shown]
	ds_write_b32 v17, v8 offset:1080
	ds_write_b32 v17, v9 offset:2280
	;; [unrolled: 1-line block ×3, first 2 shown]
.LBB0_21:
	s_or_b32 exec_lo, exec_lo, s1
	s_waitcnt lgkmcnt(0)
	s_barrier
	buffer_gl0_inv
	ds_read_b32 v8, v16
	v_sub_nc_u32_e32 v11, v1, v5
	s_add_u32 s1, s8, 0xde8
	s_addc_u32 s4, s9, 0
	s_mov_b32 s5, exec_lo
                                        ; implicit-def: $vgpr13
                                        ; implicit-def: $vgpr12
                                        ; implicit-def: $vgpr14
                                        ; implicit-def: $vgpr9_vgpr10
	v_cmpx_ne_u32_e32 0, v0
	s_xor_b32 s5, exec_lo, s5
	s_cbranch_execz .LBB0_23
; %bb.22:
	v_mov_b32_e32 v1, 0
	v_lshlrev_b64 v[9:10], 2, v[0:1]
	v_add_co_u32 v9, s0, s1, v9
	v_add_co_ci_u32_e64 v10, s0, s4, v10, s0
	global_load_dword v5, v[9:10], off
	ds_read_b32 v9, v11 offset:3600
	s_waitcnt lgkmcnt(0)
	v_pk_add_f16 v10, v8, v9 neg_lo:[0,1] neg_hi:[0,1]
	v_pk_add_f16 v8, v9, v8
	v_bfi_b32 v9, 0xffff, v10, v8
	v_bfi_b32 v8, 0xffff, v8, v10
	v_pk_mul_f16 v9, v9, 0.5 op_sel_hi:[1,0]
	v_pk_mul_f16 v12, v8, 0.5 op_sel_hi:[1,0]
	s_waitcnt vmcnt(0)
	v_pk_mul_f16 v10, v5, v9 op_sel:[1,0]
	v_pk_mul_f16 v5, v5, v9 op_sel_hi:[0,1]
	v_pk_fma_f16 v8, v8, 0.5, v10 op_sel_hi:[1,0,1]
	v_sub_f16_e32 v9, v12, v10
	v_sub_f16_sdwa v10, v10, v12 dst_sel:DWORD dst_unused:UNUSED_PAD src0_sel:WORD_1 src1_sel:WORD_1
	v_pk_add_f16 v13, v8, v5 op_sel:[0,1] op_sel_hi:[1,0]
	v_pk_add_f16 v8, v8, v5 op_sel:[0,1] op_sel_hi:[1,0] neg_lo:[0,1] neg_hi:[0,1]
	v_sub_f16_sdwa v12, v9, v5 dst_sel:DWORD dst_unused:UNUSED_PAD src0_sel:DWORD src1_sel:WORD_1
	v_sub_f16_e32 v14, v10, v5
	v_mov_b32_e32 v10, v1
	v_mov_b32_e32 v9, v0
	v_bfi_b32 v13, 0xffff, v13, v8
                                        ; implicit-def: $vgpr8
                                        ; implicit-def: $vgpr1
.LBB0_23:
	s_andn2_saveexec_b32 s0, s5
	s_cbranch_execz .LBB0_25
; %bb.24:
	ds_read_u16 v5, v1 offset:1802
	s_waitcnt lgkmcnt(1)
	v_alignbit_b32 v9, s0, v8, 16
	v_sub_f16_sdwa v12, v8, v8 dst_sel:DWORD dst_unused:UNUSED_PAD src0_sel:DWORD src1_sel:WORD_1
	v_mov_b32_e32 v14, 0
	v_pk_add_f16 v9, v9, v8
	v_pack_b32_f16 v13, v9, 0
	v_mov_b32_e32 v9, 0
	v_mov_b32_e32 v10, 0
	s_waitcnt lgkmcnt(0)
	v_xor_b32_e32 v5, 0x8000, v5
	ds_write_b16 v1, v5 offset:1802
.LBB0_25:
	s_or_b32 exec_lo, exec_lo, s0
	v_mov_b32_e32 v5, 0
	v_lshlrev_b64 v[17:18], 2, v[4:5]
	s_waitcnt lgkmcnt(0)
	v_mov_b32_e32 v8, v5
	v_lshlrev_b64 v[7:8], 2, v[7:8]
	v_add_co_u32 v17, s0, s1, v17
	v_add_co_ci_u32_e64 v18, s0, s4, v18, s0
	v_add_co_u32 v7, s0, s1, v7
	global_load_dword v1, v[17:18], off
	v_add_co_ci_u32_e64 v8, s0, s4, v8, s0
	global_load_dword v8, v[7:8], off
	v_mov_b32_e32 v7, v5
	v_lshlrev_b64 v[4:5], 2, v[6:7]
	v_add_co_u32 v4, s0, s1, v4
	v_add_co_ci_u32_e64 v5, s0, s4, v5, s0
	global_load_dword v15, v[4:5], off
	v_lshlrev_b64 v[4:5], 2, v[9:10]
	v_add_co_u32 v6, s0, s1, v4
	v_add_co_ci_u32_e64 v7, s0, s4, v5, s0
	global_load_dword v6, v[6:7], off offset:1440
	ds_write_b16 v11, v14 offset:3602
	ds_write_b32 v16, v13
	ds_write_b16 v11, v12 offset:3600
	ds_read_b32 v7, v21
	ds_read_b32 v9, v11 offset:3240
	s_waitcnt lgkmcnt(0)
	v_pk_add_f16 v10, v7, v9 neg_lo:[0,1] neg_hi:[0,1]
	v_pk_add_f16 v7, v7, v9
	v_bfi_b32 v9, 0xffff, v10, v7
	v_bfi_b32 v7, 0xffff, v7, v10
	v_pk_mul_f16 v9, v9, 0.5 op_sel_hi:[1,0]
	v_pk_mul_f16 v7, v7, 0.5 op_sel_hi:[1,0]
	s_waitcnt vmcnt(3)
	v_pk_fma_f16 v10, v1, v9, v7 op_sel:[1,0,0]
	v_pk_mul_f16 v12, v1, v9 op_sel_hi:[0,1]
	v_pk_fma_f16 v13, v1, v9, v7 op_sel:[1,0,0] neg_lo:[1,0,0] neg_hi:[1,0,0]
	v_pk_fma_f16 v1, v1, v9, v7 op_sel:[1,0,0] neg_lo:[0,0,1] neg_hi:[0,0,1]
	v_pk_add_f16 v7, v10, v12 op_sel:[0,1] op_sel_hi:[1,0]
	v_pk_add_f16 v9, v10, v12 op_sel:[0,1] op_sel_hi:[1,0] neg_lo:[0,1] neg_hi:[0,1]
	v_pk_add_f16 v10, v13, v12 op_sel:[0,1] op_sel_hi:[1,0] neg_lo:[0,1] neg_hi:[0,1]
	;; [unrolled: 1-line block ×3, first 2 shown]
	v_bfi_b32 v7, 0xffff, v7, v9
	v_bfi_b32 v1, 0xffff, v10, v1
	ds_write_b32 v21, v7
	ds_write_b32 v11, v1 offset:3240
	ds_read_b32 v1, v20
	ds_read_b32 v7, v11 offset:2880
	s_waitcnt lgkmcnt(0)
	v_pk_add_f16 v9, v1, v7 neg_lo:[0,1] neg_hi:[0,1]
	v_pk_add_f16 v1, v1, v7
	v_bfi_b32 v7, 0xffff, v9, v1
	v_bfi_b32 v1, 0xffff, v1, v9
	v_pk_mul_f16 v7, v7, 0.5 op_sel_hi:[1,0]
	v_pk_mul_f16 v1, v1, 0.5 op_sel_hi:[1,0]
	s_waitcnt vmcnt(2)
	v_pk_mul_f16 v10, v8, v7 op_sel_hi:[0,1]
	v_pk_fma_f16 v9, v8, v7, v1 op_sel:[1,0,0]
	v_pk_fma_f16 v12, v8, v7, v1 op_sel:[1,0,0] neg_lo:[1,0,0] neg_hi:[1,0,0]
	v_pk_fma_f16 v1, v8, v7, v1 op_sel:[1,0,0] neg_lo:[0,0,1] neg_hi:[0,0,1]
	v_pk_add_f16 v7, v9, v10 op_sel:[0,1] op_sel_hi:[1,0]
	v_pk_add_f16 v8, v9, v10 op_sel:[0,1] op_sel_hi:[1,0] neg_lo:[0,1] neg_hi:[0,1]
	v_pk_add_f16 v9, v12, v10 op_sel:[0,1] op_sel_hi:[1,0] neg_lo:[0,1] neg_hi:[0,1]
	;; [unrolled: 1-line block ×3, first 2 shown]
	v_bfi_b32 v7, 0xffff, v7, v8
	v_bfi_b32 v1, 0xffff, v9, v1
	ds_write_b32 v20, v7
	ds_write_b32 v11, v1 offset:2880
	ds_read_b32 v1, v19
	ds_read_b32 v7, v11 offset:2520
	s_waitcnt lgkmcnt(0)
	v_pk_add_f16 v8, v1, v7 neg_lo:[0,1] neg_hi:[0,1]
	v_pk_add_f16 v1, v1, v7
	v_bfi_b32 v7, 0xffff, v8, v1
	v_bfi_b32 v1, 0xffff, v1, v8
	v_pk_mul_f16 v7, v7, 0.5 op_sel_hi:[1,0]
	v_pk_mul_f16 v1, v1, 0.5 op_sel_hi:[1,0]
	s_waitcnt vmcnt(1)
	v_pk_mul_f16 v9, v15, v7 op_sel_hi:[0,1]
	v_pk_fma_f16 v8, v15, v7, v1 op_sel:[1,0,0]
	v_pk_fma_f16 v10, v15, v7, v1 op_sel:[1,0,0] neg_lo:[1,0,0] neg_hi:[1,0,0]
	v_pk_fma_f16 v1, v15, v7, v1 op_sel:[1,0,0] neg_lo:[0,0,1] neg_hi:[0,0,1]
	v_pk_add_f16 v7, v8, v9 op_sel:[0,1] op_sel_hi:[1,0]
	v_pk_add_f16 v8, v8, v9 op_sel:[0,1] op_sel_hi:[1,0] neg_lo:[0,1] neg_hi:[0,1]
	v_pk_add_f16 v10, v10, v9 op_sel:[0,1] op_sel_hi:[1,0] neg_lo:[0,1] neg_hi:[0,1]
	;; [unrolled: 1-line block ×3, first 2 shown]
	v_bfi_b32 v7, 0xffff, v7, v8
	v_bfi_b32 v1, 0xffff, v10, v1
	ds_write_b32 v19, v7
	ds_write_b32 v11, v1 offset:2520
	ds_read_b32 v1, v16 offset:1440
	ds_read_b32 v7, v11 offset:2160
	s_waitcnt lgkmcnt(0)
	v_pk_add_f16 v8, v1, v7 neg_lo:[0,1] neg_hi:[0,1]
	v_pk_add_f16 v1, v1, v7
	v_bfi_b32 v7, 0xffff, v8, v1
	v_bfi_b32 v1, 0xffff, v1, v8
	v_pk_mul_f16 v7, v7, 0.5 op_sel_hi:[1,0]
	v_pk_mul_f16 v1, v1, 0.5 op_sel_hi:[1,0]
	s_waitcnt vmcnt(0)
	v_pk_mul_f16 v9, v6, v7 op_sel_hi:[0,1]
	v_pk_fma_f16 v8, v6, v7, v1 op_sel:[1,0,0]
	v_pk_fma_f16 v10, v6, v7, v1 op_sel:[1,0,0] neg_lo:[1,0,0] neg_hi:[1,0,0]
	v_pk_fma_f16 v1, v6, v7, v1 op_sel:[1,0,0] neg_lo:[0,0,1] neg_hi:[0,0,1]
	v_pk_add_f16 v6, v8, v9 op_sel:[0,1] op_sel_hi:[1,0]
	v_pk_add_f16 v7, v8, v9 op_sel:[0,1] op_sel_hi:[1,0] neg_lo:[0,1] neg_hi:[0,1]
	v_pk_add_f16 v8, v10, v9 op_sel:[0,1] op_sel_hi:[1,0] neg_lo:[0,1] neg_hi:[0,1]
	;; [unrolled: 1-line block ×3, first 2 shown]
	v_bfi_b32 v6, 0xffff, v6, v7
	v_bfi_b32 v1, 0xffff, v8, v1
	ds_write_b32 v16, v6 offset:1440
	ds_write_b32 v11, v1 offset:2160
	s_waitcnt lgkmcnt(0)
	s_barrier
	buffer_gl0_inv
	s_and_saveexec_b32 s0, vcc_lo
	s_cbranch_execz .LBB0_28
; %bb.26:
	v_add_nc_u32_e32 v1, 0x200, v16
	v_add_nc_u32_e32 v10, 0x400, v16
	v_add_nc_u32_e32 v12, 0x800, v16
	v_add_nc_u32_e32 v14, 0xa00, v16
	ds_read2_b32 v[6:7], v16 offset1:90
	ds_read2_b32 v[8:9], v1 offset0:52 offset1:142
	ds_read2_b32 v[10:11], v10 offset0:104 offset1:194
	;; [unrolled: 1-line block ×3, first 2 shown]
	v_add_co_u32 v1, vcc_lo, s2, v2
	ds_read2_b32 v[14:15], v14 offset0:80 offset1:170
	v_add_co_ci_u32_e32 v2, vcc_lo, s3, v3, vcc_lo
	v_add_co_u32 v3, vcc_lo, v1, v4
	v_add_co_ci_u32_e32 v4, vcc_lo, v2, v5, vcc_lo
	v_add_co_u32 v17, vcc_lo, 0x800, v3
	s_waitcnt lgkmcnt(4)
	global_store_dword v[3:4], v6, off
	global_store_dword v[3:4], v7, off offset:360
	s_waitcnt lgkmcnt(3)
	global_store_dword v[3:4], v8, off offset:720
	global_store_dword v[3:4], v9, off offset:1080
	s_waitcnt lgkmcnt(2)
	global_store_dword v[3:4], v10, off offset:1440
	global_store_dword v[3:4], v11, off offset:1800
	v_add_co_ci_u32_e32 v18, vcc_lo, 0, v4, vcc_lo
	v_cmp_eq_u32_e32 vcc_lo, 0x59, v0
	s_waitcnt lgkmcnt(1)
	global_store_dword v[17:18], v12, off offset:112
	global_store_dword v[17:18], v13, off offset:472
	s_waitcnt lgkmcnt(0)
	global_store_dword v[17:18], v14, off offset:832
	global_store_dword v[17:18], v15, off offset:1192
	s_and_b32 exec_lo, exec_lo, vcc_lo
	s_cbranch_execz .LBB0_28
; %bb.27:
	ds_read_b32 v3, v16 offset:3244
	v_add_co_u32 v0, vcc_lo, 0x800, v1
	v_add_co_ci_u32_e32 v1, vcc_lo, 0, v2, vcc_lo
	s_waitcnt lgkmcnt(0)
	global_store_dword v[0:1], v3, off offset:1552
.LBB0_28:
	s_endpgm
	.section	.rodata,"a",@progbits
	.p2align	6, 0x0
	.amdhsa_kernel fft_rtc_fwd_len900_factors_10_10_3_3_wgs_180_tpt_90_halfLds_half_ip_CI_unitstride_sbrr_R2C_dirReg
		.amdhsa_group_segment_fixed_size 0
		.amdhsa_private_segment_fixed_size 0
		.amdhsa_kernarg_size 88
		.amdhsa_user_sgpr_count 6
		.amdhsa_user_sgpr_private_segment_buffer 1
		.amdhsa_user_sgpr_dispatch_ptr 0
		.amdhsa_user_sgpr_queue_ptr 0
		.amdhsa_user_sgpr_kernarg_segment_ptr 1
		.amdhsa_user_sgpr_dispatch_id 0
		.amdhsa_user_sgpr_flat_scratch_init 0
		.amdhsa_user_sgpr_private_segment_size 0
		.amdhsa_wavefront_size32 1
		.amdhsa_uses_dynamic_stack 0
		.amdhsa_system_sgpr_private_segment_wavefront_offset 0
		.amdhsa_system_sgpr_workgroup_id_x 1
		.amdhsa_system_sgpr_workgroup_id_y 0
		.amdhsa_system_sgpr_workgroup_id_z 0
		.amdhsa_system_sgpr_workgroup_info 0
		.amdhsa_system_vgpr_workitem_id 0
		.amdhsa_next_free_vgpr 63
		.amdhsa_next_free_sgpr 21
		.amdhsa_reserve_vcc 1
		.amdhsa_reserve_flat_scratch 0
		.amdhsa_float_round_mode_32 0
		.amdhsa_float_round_mode_16_64 0
		.amdhsa_float_denorm_mode_32 3
		.amdhsa_float_denorm_mode_16_64 3
		.amdhsa_dx10_clamp 1
		.amdhsa_ieee_mode 1
		.amdhsa_fp16_overflow 0
		.amdhsa_workgroup_processor_mode 1
		.amdhsa_memory_ordered 1
		.amdhsa_forward_progress 0
		.amdhsa_shared_vgpr_count 0
		.amdhsa_exception_fp_ieee_invalid_op 0
		.amdhsa_exception_fp_denorm_src 0
		.amdhsa_exception_fp_ieee_div_zero 0
		.amdhsa_exception_fp_ieee_overflow 0
		.amdhsa_exception_fp_ieee_underflow 0
		.amdhsa_exception_fp_ieee_inexact 0
		.amdhsa_exception_int_div_zero 0
	.end_amdhsa_kernel
	.text
.Lfunc_end0:
	.size	fft_rtc_fwd_len900_factors_10_10_3_3_wgs_180_tpt_90_halfLds_half_ip_CI_unitstride_sbrr_R2C_dirReg, .Lfunc_end0-fft_rtc_fwd_len900_factors_10_10_3_3_wgs_180_tpt_90_halfLds_half_ip_CI_unitstride_sbrr_R2C_dirReg
                                        ; -- End function
	.section	.AMDGPU.csdata,"",@progbits
; Kernel info:
; codeLenInByte = 8068
; NumSgprs: 23
; NumVgprs: 63
; ScratchSize: 0
; MemoryBound: 0
; FloatMode: 240
; IeeeMode: 1
; LDSByteSize: 0 bytes/workgroup (compile time only)
; SGPRBlocks: 2
; VGPRBlocks: 7
; NumSGPRsForWavesPerEU: 23
; NumVGPRsForWavesPerEU: 63
; Occupancy: 15
; WaveLimiterHint : 1
; COMPUTE_PGM_RSRC2:SCRATCH_EN: 0
; COMPUTE_PGM_RSRC2:USER_SGPR: 6
; COMPUTE_PGM_RSRC2:TRAP_HANDLER: 0
; COMPUTE_PGM_RSRC2:TGID_X_EN: 1
; COMPUTE_PGM_RSRC2:TGID_Y_EN: 0
; COMPUTE_PGM_RSRC2:TGID_Z_EN: 0
; COMPUTE_PGM_RSRC2:TIDIG_COMP_CNT: 0
	.text
	.p2alignl 6, 3214868480
	.fill 48, 4, 3214868480
	.type	__hip_cuid_da0505a7d80d9496,@object ; @__hip_cuid_da0505a7d80d9496
	.section	.bss,"aw",@nobits
	.globl	__hip_cuid_da0505a7d80d9496
__hip_cuid_da0505a7d80d9496:
	.byte	0                               ; 0x0
	.size	__hip_cuid_da0505a7d80d9496, 1

	.ident	"AMD clang version 19.0.0git (https://github.com/RadeonOpenCompute/llvm-project roc-6.4.0 25133 c7fe45cf4b819c5991fe208aaa96edf142730f1d)"
	.section	".note.GNU-stack","",@progbits
	.addrsig
	.addrsig_sym __hip_cuid_da0505a7d80d9496
	.amdgpu_metadata
---
amdhsa.kernels:
  - .args:
      - .actual_access:  read_only
        .address_space:  global
        .offset:         0
        .size:           8
        .value_kind:     global_buffer
      - .offset:         8
        .size:           8
        .value_kind:     by_value
      - .actual_access:  read_only
        .address_space:  global
        .offset:         16
        .size:           8
        .value_kind:     global_buffer
      - .actual_access:  read_only
        .address_space:  global
        .offset:         24
        .size:           8
        .value_kind:     global_buffer
      - .offset:         32
        .size:           8
        .value_kind:     by_value
      - .actual_access:  read_only
        .address_space:  global
        .offset:         40
        .size:           8
        .value_kind:     global_buffer
      - .actual_access:  read_only
        .address_space:  global
        .offset:         48
        .size:           8
        .value_kind:     global_buffer
      - .offset:         56
        .size:           4
        .value_kind:     by_value
      - .actual_access:  read_only
        .address_space:  global
        .offset:         64
        .size:           8
        .value_kind:     global_buffer
      - .actual_access:  read_only
        .address_space:  global
        .offset:         72
        .size:           8
        .value_kind:     global_buffer
      - .address_space:  global
        .offset:         80
        .size:           8
        .value_kind:     global_buffer
    .group_segment_fixed_size: 0
    .kernarg_segment_align: 8
    .kernarg_segment_size: 88
    .language:       OpenCL C
    .language_version:
      - 2
      - 0
    .max_flat_workgroup_size: 180
    .name:           fft_rtc_fwd_len900_factors_10_10_3_3_wgs_180_tpt_90_halfLds_half_ip_CI_unitstride_sbrr_R2C_dirReg
    .private_segment_fixed_size: 0
    .sgpr_count:     23
    .sgpr_spill_count: 0
    .symbol:         fft_rtc_fwd_len900_factors_10_10_3_3_wgs_180_tpt_90_halfLds_half_ip_CI_unitstride_sbrr_R2C_dirReg.kd
    .uniform_work_group_size: 1
    .uses_dynamic_stack: false
    .vgpr_count:     63
    .vgpr_spill_count: 0
    .wavefront_size: 32
    .workgroup_processor_mode: 1
amdhsa.target:   amdgcn-amd-amdhsa--gfx1030
amdhsa.version:
  - 1
  - 2
...

	.end_amdgpu_metadata
